;; amdgpu-corpus repo=ROCm/rocFFT kind=compiled arch=gfx906 opt=O3
	.text
	.amdgcn_target "amdgcn-amd-amdhsa--gfx906"
	.amdhsa_code_object_version 6
	.protected	bluestein_single_back_len154_dim1_dp_op_CI_CI ; -- Begin function bluestein_single_back_len154_dim1_dp_op_CI_CI
	.globl	bluestein_single_back_len154_dim1_dp_op_CI_CI
	.p2align	8
	.type	bluestein_single_back_len154_dim1_dp_op_CI_CI,@function
bluestein_single_back_len154_dim1_dp_op_CI_CI: ; @bluestein_single_back_len154_dim1_dp_op_CI_CI
; %bb.0:
	v_mul_u32_u24_e32 v1, 0xba3, v0
	s_load_dwordx4 s[0:3], s[4:5], 0x28
	v_lshrrev_b32_e32 v1, 16, v1
	v_mad_u64_u32 v[88:89], s[6:7], s6, 5, v[1:2]
	v_mov_b32_e32 v89, 0
	s_waitcnt lgkmcnt(0)
	v_cmp_gt_u64_e32 vcc, s[0:1], v[88:89]
	s_and_saveexec_b64 s[0:1], vcc
	s_cbranch_execz .LBB0_23
; %bb.1:
	s_mov_b32 s0, 0xcccccccd
	v_mul_hi_u32 v2, v88, s0
	v_mul_lo_u16_e32 v1, 22, v1
	s_load_dwordx2 s[14:15], s[4:5], 0x0
	s_load_dwordx2 s[12:13], s[4:5], 0x38
	v_sub_u16_e32 v181, v0, v1
	v_lshrrev_b32_e32 v0, 2, v2
	v_lshl_add_u32 v0, v0, 2, v0
	v_sub_u32_e32 v0, v88, v0
	v_mul_u32_u24_e32 v183, 0x9a, v0
	v_cmp_gt_u16_e64 s[0:1], 14, v181
	v_lshlrev_b32_e32 v182, 4, v181
	v_lshlrev_b32_e32 v184, 4, v183
	s_and_saveexec_b64 s[6:7], s[0:1]
	s_cbranch_execz .LBB0_3
; %bb.2:
	s_load_dwordx2 s[8:9], s[4:5], 0x18
	v_or_b32_e32 v56, 0x70, v181
	v_mov_b32_e32 v74, 0x1c0
	s_waitcnt lgkmcnt(0)
	s_load_dwordx4 s[8:11], s[8:9], 0x0
	s_waitcnt lgkmcnt(0)
	v_mad_u64_u32 v[0:1], s[16:17], s10, v88, 0
	v_mad_u64_u32 v[2:3], s[16:17], s8, v181, 0
	s_mul_i32 s16, s9, 0x1c0
	v_mad_u64_u32 v[4:5], s[10:11], s11, v88, v[1:2]
	v_mad_u64_u32 v[5:6], s[10:11], s9, v181, v[3:4]
	v_mov_b32_e32 v1, v4
	v_lshlrev_b64 v[0:1], 4, v[0:1]
	v_mov_b32_e32 v3, v5
	v_mov_b32_e32 v6, s3
	v_lshlrev_b64 v[2:3], 4, v[2:3]
	v_add_co_u32_e32 v72, vcc, s2, v0
	v_addc_co_u32_e32 v73, vcc, v6, v1, vcc
	v_add_co_u32_e32 v16, vcc, v72, v2
	s_mul_i32 s3, s9, 0xe0
	s_mul_hi_u32 s10, s8, 0xe0
	v_addc_co_u32_e32 v17, vcc, v73, v3, vcc
	s_mul_i32 s2, s8, 0xe0
	s_add_i32 s3, s10, s3
	v_mov_b32_e32 v8, s3
	v_add_co_u32_e32 v18, vcc, s2, v16
	global_load_dwordx4 v[0:3], v182, s[14:15]
	global_load_dwordx4 v[4:7], v182, s[14:15] offset:224
	v_addc_co_u32_e32 v19, vcc, v17, v8, vcc
	global_load_dwordx4 v[8:11], v[16:17], off
	global_load_dwordx4 v[12:15], v[18:19], off
	v_mad_u64_u32 v[54:55], s[10:11], s8, v56, 0
	v_mov_b32_e32 v16, s3
	v_add_co_u32_e32 v52, vcc, s2, v18
	v_addc_co_u32_e32 v53, vcc, v19, v16, vcc
	v_mad_u64_u32 v[55:56], s[10:11], s9, v56, v[55:56]
	global_load_dwordx4 v[16:19], v[52:53], off
	global_load_dwordx4 v[20:23], v182, s[14:15] offset:448
	global_load_dwordx4 v[24:27], v182, s[14:15] offset:672
	;; [unrolled: 1-line block ×6, first 2 shown]
	v_mov_b32_e32 v57, s3
	v_add_co_u32_e32 v56, vcc, s2, v52
	v_addc_co_u32_e32 v57, vcc, v53, v57, vcc
	v_mov_b32_e32 v58, s3
	v_add_co_u32_e32 v60, vcc, s2, v56
	v_addc_co_u32_e32 v61, vcc, v57, v58, vcc
	;; [unrolled: 3-line block ×3, first 2 shown]
	v_mov_b32_e32 v66, s3
	v_add_co_u32_e32 v70, vcc, s2, v64
	global_load_dwordx4 v[44:47], v182, s[14:15] offset:1792
	global_load_dwordx4 v[48:51], v182, s[14:15] offset:2016
	v_lshlrev_b64 v[68:69], 4, v[54:55]
	global_load_dwordx4 v[52:55], v[56:57], off
	v_addc_co_u32_e32 v71, vcc, v65, v66, vcc
	v_mov_b32_e32 v75, s3
	global_load_dwordx4 v[56:59], v[60:61], off
	v_add_co_u32_e32 v76, vcc, s2, v70
	v_addc_co_u32_e32 v77, vcc, v71, v75, vcc
	v_mad_u64_u32 v[80:81], s[8:9], s8, v74, v[76:77]
	global_load_dwordx4 v[60:63], v[64:65], off
	v_add_co_u32_e32 v78, vcc, v72, v68
	global_load_dwordx4 v[64:67], v[70:71], off
	v_addc_co_u32_e32 v79, vcc, v73, v69, vcc
	global_load_dwordx4 v[68:71], v[78:79], off
	global_load_dwordx4 v[72:75], v[76:77], off
	v_mov_b32_e32 v82, s3
	v_add_u32_e32 v81, s16, v81
	v_add_co_u32_e32 v89, vcc, s2, v80
	global_load_dwordx4 v[76:79], v[80:81], off
	v_addc_co_u32_e32 v90, vcc, v81, v82, vcc
	global_load_dwordx4 v[80:83], v[89:90], off
	global_load_dwordx4 v[84:87], v182, s[14:15] offset:2240
	s_waitcnt vmcnt(19)
	v_mul_f64 v[89:90], v[10:11], v[2:3]
	v_mul_f64 v[2:3], v[8:9], v[2:3]
	s_waitcnt vmcnt(18)
	v_mul_f64 v[91:92], v[14:15], v[6:7]
	v_mul_f64 v[93:94], v[12:13], v[6:7]
	;; [unrolled: 3-line block ×3, first 2 shown]
	v_fma_f64 v[6:7], v[8:9], v[0:1], v[89:90]
	v_fma_f64 v[8:9], v[10:11], v[0:1], -v[2:3]
	v_fma_f64 v[0:1], v[12:13], v[4:5], v[91:92]
	v_fma_f64 v[2:3], v[14:15], v[4:5], -v[93:94]
	v_lshl_add_u32 v4, v181, 4, v184
	v_add_u32_e32 v89, v184, v182
	v_fma_f64 v[10:11], v[16:17], v[20:21], v[95:96]
	v_fma_f64 v[12:13], v[18:19], v[20:21], -v[22:23]
	ds_write_b128 v4, v[6:9]
	ds_write_b128 v89, v[0:3] offset:224
	ds_write_b128 v89, v[10:13] offset:448
	s_waitcnt vmcnt(8)
	v_mul_f64 v[0:1], v[54:55], v[26:27]
	v_mul_f64 v[2:3], v[52:53], v[26:27]
	s_waitcnt vmcnt(7)
	v_mul_f64 v[4:5], v[58:59], v[30:31]
	v_mul_f64 v[6:7], v[56:57], v[30:31]
	v_fma_f64 v[0:1], v[52:53], v[24:25], v[0:1]
	v_fma_f64 v[2:3], v[54:55], v[24:25], -v[2:3]
	s_waitcnt vmcnt(6)
	v_mul_f64 v[8:9], v[62:63], v[34:35]
	v_mul_f64 v[10:11], v[60:61], v[34:35]
	v_fma_f64 v[4:5], v[56:57], v[28:29], v[4:5]
	s_waitcnt vmcnt(5)
	v_mul_f64 v[12:13], v[66:67], v[38:39]
	v_mul_f64 v[14:15], v[64:65], v[38:39]
	s_waitcnt vmcnt(4)
	v_mul_f64 v[20:21], v[70:71], v[46:47]
	s_waitcnt vmcnt(3)
	v_mul_f64 v[16:17], v[74:75], v[42:43]
	v_mul_f64 v[18:19], v[72:73], v[42:43]
	;; [unrolled: 1-line block ×3, first 2 shown]
	v_fma_f64 v[6:7], v[58:59], v[28:29], -v[6:7]
	v_fma_f64 v[8:9], v[60:61], v[32:33], v[8:9]
	s_waitcnt vmcnt(2)
	v_mul_f64 v[24:25], v[78:79], v[50:51]
	v_mul_f64 v[26:27], v[76:77], v[50:51]
	v_fma_f64 v[10:11], v[62:63], v[32:33], -v[10:11]
	s_waitcnt vmcnt(0)
	v_mul_f64 v[28:29], v[82:83], v[86:87]
	v_mul_f64 v[30:31], v[80:81], v[86:87]
	v_fma_f64 v[12:13], v[64:65], v[36:37], v[12:13]
	v_fma_f64 v[14:15], v[66:67], v[36:37], -v[14:15]
	v_fma_f64 v[16:17], v[72:73], v[40:41], v[16:17]
	v_fma_f64 v[18:19], v[74:75], v[40:41], -v[18:19]
	;; [unrolled: 2-line block ×5, first 2 shown]
	ds_write_b128 v89, v[0:3] offset:672
	ds_write_b128 v89, v[4:7] offset:896
	ds_write_b128 v89, v[8:11] offset:1120
	ds_write_b128 v89, v[12:15] offset:1344
	ds_write_b128 v89, v[16:19] offset:1568
	ds_write_b128 v89, v[20:23] offset:1792
	ds_write_b128 v89, v[24:27] offset:2016
	ds_write_b128 v89, v[28:31] offset:2240
.LBB0_3:
	s_or_b64 exec, exec, s[6:7]
	s_load_dwordx2 s[2:3], s[4:5], 0x20
	s_load_dwordx2 s[8:9], s[4:5], 0x8
	s_waitcnt lgkmcnt(0)
	s_barrier
	s_waitcnt lgkmcnt(0)
                                        ; implicit-def: $vgpr12_vgpr13
                                        ; implicit-def: $vgpr16_vgpr17
                                        ; implicit-def: $vgpr20_vgpr21
                                        ; implicit-def: $vgpr24_vgpr25
                                        ; implicit-def: $vgpr28_vgpr29
                                        ; implicit-def: $vgpr32_vgpr33
                                        ; implicit-def: $vgpr36_vgpr37
                                        ; implicit-def: $vgpr40_vgpr41
                                        ; implicit-def: $vgpr44_vgpr45
                                        ; implicit-def: $vgpr48_vgpr49
                                        ; implicit-def: $vgpr56_vgpr57
	s_and_saveexec_b64 s[4:5], s[0:1]
	s_cbranch_execz .LBB0_5
; %bb.4:
	v_lshl_add_u32 v0, v183, 4, v182
	ds_read_b128 v[12:15], v0
	ds_read_b128 v[16:19], v0 offset:224
	ds_read_b128 v[20:23], v0 offset:448
	;; [unrolled: 1-line block ×10, first 2 shown]
.LBB0_5:
	s_or_b64 exec, exec, s[4:5]
	s_waitcnt lgkmcnt(0)
	v_add_f64 v[95:96], v[18:19], -v[58:59]
	s_mov_b32 s10, 0xf8bb580b
	s_mov_b32 s11, 0xbfe14ced
	v_add_f64 v[76:77], v[16:17], v[56:57]
	v_add_f64 v[123:124], v[22:23], -v[50:51]
	s_mov_b32 s6, 0x8764f0ba
	s_mov_b32 s22, 0x8eee2c13
	;; [unrolled: 1-line block ×3, first 2 shown]
	v_mul_f64 v[60:61], v[95:96], s[10:11]
	s_mov_b32 s23, 0xbfed1bb4
	v_add_f64 v[82:83], v[16:17], -v[56:57]
	v_add_f64 v[91:92], v[20:21], v[48:49]
	v_mul_f64 v[62:63], v[123:124], s[22:23]
	v_add_f64 v[137:138], v[26:27], -v[46:47]
	s_mov_b32 s4, 0xd9c712b6
	s_mov_b32 s16, 0x43842ef
	v_fma_f64 v[0:1], v[76:77], s[6:7], v[60:61]
	s_mov_b32 s5, 0x3fda9628
	s_mov_b32 s17, 0xbfefac9e
	v_add_f64 v[109:110], v[18:19], v[58:59]
	v_add_f64 v[107:108], v[20:21], -v[48:49]
	v_fma_f64 v[4:5], v[91:92], s[4:5], v[62:63]
	v_add_f64 v[97:98], v[24:25], v[44:45]
	v_mul_f64 v[68:69], v[137:138], s[16:17]
	v_add_f64 v[0:1], v[12:13], v[0:1]
	v_add_f64 v[115:116], v[30:31], -v[42:43]
	v_mul_f64 v[80:81], v[95:96], s[22:23]
	v_mul_f64 v[125:126], v[82:83], s[22:23]
	s_mov_b32 s18, 0x640f44db
	s_mov_b32 s26, 0xbb3a28a1
	;; [unrolled: 1-line block ×4, first 2 shown]
	v_add_f64 v[131:132], v[22:23], v[50:51]
	v_add_f64 v[117:118], v[24:25], -v[44:45]
	v_add_f64 v[0:1], v[4:5], v[0:1]
	v_fma_f64 v[4:5], v[97:98], s[18:19], v[68:69]
	v_add_f64 v[111:112], v[28:29], v[40:41]
	v_mul_f64 v[72:73], v[115:116], s[26:27]
	v_fma_f64 v[8:9], v[76:77], s[4:5], v[80:81]
	v_mul_f64 v[86:87], v[123:124], s[26:27]
	v_fma_f64 v[10:11], v[109:110], s[4:5], -v[125:126]
	v_mul_f64 v[99:100], v[107:108], s[26:27]
	s_mov_b32 s24, 0x7f775887
	s_mov_b32 s40, 0xfd768dbf
	;; [unrolled: 1-line block ×4, first 2 shown]
	v_add_f64 v[147:148], v[26:27], v[46:47]
	v_add_f64 v[119:120], v[28:29], -v[40:41]
	v_add_f64 v[0:1], v[4:5], v[0:1]
	v_fma_f64 v[4:5], v[111:112], s[24:25], v[72:73]
	v_add_f64 v[8:9], v[12:13], v[8:9]
	v_fma_f64 v[52:53], v[91:92], s[24:25], v[86:87]
	v_add_f64 v[10:11], v[14:15], v[10:11]
	v_fma_f64 v[54:55], v[131:132], s[24:25], -v[99:100]
	v_mul_f64 v[89:90], v[137:138], s[40:41]
	v_mul_f64 v[103:104], v[117:118], s[40:41]
	s_mov_b32 s30, 0x9bcd5057
	s_mov_b32 s31, 0xbfeeb42a
	;; [unrolled: 1-line block ×4, first 2 shown]
	v_add_f64 v[133:134], v[30:31], v[42:43]
	v_add_f64 v[0:1], v[4:5], v[0:1]
	;; [unrolled: 1-line block ×4, first 2 shown]
	v_fma_f64 v[10:11], v[97:98], s[30:31], v[89:90]
	v_fma_f64 v[52:53], v[147:148], s[30:31], -v[103:104]
	v_mul_f64 v[93:94], v[115:116], s[28:29]
	v_mul_f64 v[105:106], v[119:120], s[28:29]
	;; [unrolled: 1-line block ×6, first 2 shown]
	v_add_f64 v[4:5], v[10:11], v[4:5]
	v_add_f64 v[8:9], v[52:53], v[8:9]
	v_fma_f64 v[10:11], v[111:112], s[18:19], v[93:94]
	v_fma_f64 v[52:53], v[133:134], s[18:19], -v[105:106]
	v_fma_f64 v[129:130], v[76:77], s[18:19], v[121:122]
	v_mul_f64 v[165:166], v[95:96], s[26:27]
	v_mul_f64 v[177:178], v[82:83], s[26:27]
	s_mov_b32 s37, 0x3fed1bb4
	s_mov_b32 s36, s22
	v_mul_f64 v[64:65], v[107:108], s[22:23]
	v_fma_f64 v[2:3], v[109:110], s[6:7], -v[66:67]
	v_add_f64 v[4:5], v[10:11], v[4:5]
	v_fma_f64 v[10:11], v[109:110], s[18:19], -v[157:158]
	v_add_f64 v[52:53], v[52:53], v[8:9]
	v_mul_f64 v[159:160], v[107:108], s[40:41]
	v_add_f64 v[8:9], v[12:13], v[129:130]
	v_fma_f64 v[139:140], v[91:92], s[30:31], v[127:128]
	v_mul_f64 v[129:130], v[137:138], s[36:37]
	v_fma_f64 v[151:152], v[76:77], s[24:25], v[165:166]
	v_mul_f64 v[161:162], v[123:124], s[28:29]
	v_fma_f64 v[155:156], v[109:110], s[24:25], -v[177:178]
	v_mul_f64 v[175:176], v[107:108], s[28:29]
	v_fma_f64 v[6:7], v[131:132], s[4:5], -v[64:65]
	v_add_f64 v[2:3], v[14:15], v[2:3]
	v_mul_f64 v[70:71], v[117:118], s[16:17]
	v_add_f64 v[10:11], v[14:15], v[10:11]
	v_fma_f64 v[149:150], v[131:132], s[30:31], -v[159:160]
	v_mul_f64 v[143:144], v[117:118], s[36:37]
	v_add_f64 v[8:9], v[139:140], v[8:9]
	v_fma_f64 v[139:140], v[97:98], s[4:5], v[129:130]
	v_add_f64 v[163:164], v[12:13], v[151:152]
	v_fma_f64 v[169:170], v[91:92], s[18:19], v[161:162]
	v_add_f64 v[155:156], v[14:15], v[155:156]
	v_fma_f64 v[171:172], v[131:132], s[18:19], -v[175:176]
	v_mul_f64 v[167:168], v[137:138], s[10:11]
	v_mul_f64 v[179:180], v[117:118], s[10:11]
	s_mov_b32 s35, 0xbfd207e7
	s_mov_b32 s34, s40
	v_add_f64 v[2:3], v[6:7], v[2:3]
	v_fma_f64 v[6:7], v[147:148], s[18:19], -v[70:71]
	v_mul_f64 v[74:75], v[119:120], s[26:27]
	v_add_f64 v[145:146], v[34:35], -v[38:39]
	v_add_f64 v[141:142], v[32:33], -v[36:37]
	v_add_f64 v[10:11], v[149:150], v[10:11]
	v_fma_f64 v[149:150], v[147:148], s[4:5], -v[143:144]
	v_add_f64 v[8:9], v[139:140], v[8:9]
	v_mul_f64 v[139:140], v[115:116], s[10:11]
	v_mul_f64 v[151:152], v[119:120], s[10:11]
	v_add_f64 v[169:170], v[169:170], v[163:164]
	v_add_f64 v[173:174], v[171:172], v[155:156]
	v_fma_f64 v[189:190], v[97:98], s[6:7], v[167:168]
	v_fma_f64 v[191:192], v[147:148], s[6:7], -v[179:180]
	v_mul_f64 v[163:164], v[115:116], s[34:35]
	v_mul_f64 v[171:172], v[119:120], s[34:35]
	s_mov_b32 s39, 0x3fe14ced
	s_mov_b32 s38, s10
	v_add_f64 v[2:3], v[6:7], v[2:3]
	v_fma_f64 v[6:7], v[133:134], s[24:25], -v[74:75]
	v_add_f64 v[135:136], v[32:33], v[36:37]
	v_mul_f64 v[78:79], v[145:146], s[34:35]
	v_add_f64 v[153:154], v[34:35], v[38:39]
	v_mul_f64 v[84:85], v[141:142], s[34:35]
	v_mul_f64 v[101:102], v[145:146], s[38:39]
	;; [unrolled: 1-line block ×3, first 2 shown]
	v_add_f64 v[10:11], v[149:150], v[10:11]
	v_fma_f64 v[193:194], v[111:112], s[6:7], v[139:140]
	v_fma_f64 v[195:196], v[133:134], s[6:7], -v[151:152]
	v_mul_f64 v[149:150], v[145:146], s[26:27]
	v_mul_f64 v[155:156], v[141:142], s[26:27]
	v_add_f64 v[189:190], v[189:190], v[169:170]
	v_add_f64 v[191:192], v[191:192], v[173:174]
	v_fma_f64 v[197:198], v[111:112], s[30:31], v[163:164]
	v_fma_f64 v[199:200], v[133:134], s[30:31], -v[171:172]
	v_mul_f64 v[169:170], v[145:146], s[36:37]
	v_mul_f64 v[173:174], v[141:142], s[36:37]
	v_add_f64 v[2:3], v[6:7], v[2:3]
	v_fma_f64 v[6:7], v[135:136], s[30:31], v[78:79]
	v_fma_f64 v[54:55], v[153:154], s[30:31], -v[84:85]
	v_fma_f64 v[185:186], v[135:136], s[6:7], v[101:102]
	v_fma_f64 v[187:188], v[153:154], s[6:7], -v[113:114]
	v_add_f64 v[193:194], v[193:194], v[8:9]
	v_add_f64 v[195:196], v[195:196], v[10:11]
	v_fma_f64 v[201:202], v[135:136], s[24:25], v[149:150]
	v_fma_f64 v[203:204], v[153:154], s[24:25], -v[155:156]
	v_add_f64 v[189:190], v[197:198], v[189:190]
	v_add_f64 v[191:192], v[199:200], v[191:192]
	v_fma_f64 v[197:198], v[135:136], s[4:5], v[169:170]
	v_fma_f64 v[199:200], v[153:154], s[4:5], -v[173:174]
	v_add_f64 v[8:9], v[6:7], v[0:1]
	v_add_f64 v[10:11], v[54:55], v[2:3]
	v_add_f64 v[4:5], v[185:186], v[4:5]
	v_add_f64 v[6:7], v[187:188], v[52:53]
	;; [unrolled: 1-line block ×6, first 2 shown]
	v_mul_lo_u16_e32 v185, 11, v181
	s_barrier
	s_and_saveexec_b64 s[20:21], s[0:1]
	s_cbranch_execz .LBB0_7
; %bb.6:
	v_mul_f64 v[188:189], v[109:110], s[6:7]
	v_mul_f64 v[192:193], v[109:110], s[4:5]
	;; [unrolled: 1-line block ×12, first 2 shown]
	v_fma_f64 v[220:221], v[82:83], s[40:41], v[109:110]
	v_mul_f64 v[137:138], v[137:138], s[26:27]
	v_fma_f64 v[82:83], v[82:83], s[34:35], v[109:110]
	v_add_f64 v[177:178], v[177:178], v[200:201]
	v_mul_f64 v[186:187], v[76:77], s[6:7]
	v_fma_f64 v[232:233], v[107:108], s[10:11], v[131:132]
	v_fma_f64 v[236:237], v[76:77], s[30:31], v[95:96]
	v_mul_f64 v[190:191], v[76:77], s[4:5]
	v_add_f64 v[220:221], v[14:15], v[220:221]
	v_mul_f64 v[194:195], v[76:77], s[18:19]
	v_mul_f64 v[198:199], v[76:77], s[24:25]
	;; [unrolled: 1-line block ×5, first 2 shown]
	v_add_f64 v[236:237], v[12:13], v[236:237]
	v_mul_f64 v[234:235], v[147:148], s[4:5]
	v_add_f64 v[220:221], v[232:233], v[220:221]
	v_fma_f64 v[232:233], v[91:92], s[6:7], v[123:124]
	v_mul_f64 v[147:148], v[147:148], s[6:7]
	v_fma_f64 v[109:110], v[97:98], s[24:25], v[137:138]
	v_fma_f64 v[107:108], v[107:108], s[38:39], v[131:132]
	v_add_f64 v[82:83], v[14:15], v[82:83]
	v_add_f64 v[175:176], v[175:176], v[216:217]
	;; [unrolled: 1-line block ×3, first 2 shown]
	v_fma_f64 v[76:77], v[76:77], s[30:31], -v[95:96]
	v_add_f64 v[232:233], v[232:233], v[236:237]
	v_add_f64 v[18:19], v[14:15], v[18:19]
	;; [unrolled: 1-line block ×3, first 2 shown]
	s_mov_b32 s11, 0x3fe82f19
	s_mov_b32 s10, s26
	v_mul_f64 v[202:203], v[91:92], s[4:5]
	v_mul_f64 v[206:207], v[91:92], s[24:25]
	;; [unrolled: 1-line block ×5, first 2 shown]
	v_fma_f64 v[240:241], v[117:118], s[10:11], v[230:231]
	v_mul_f64 v[236:237], v[133:134], s[24:25]
	v_mul_f64 v[131:132], v[133:134], s[18:19]
	v_add_f64 v[109:110], v[109:110], v[232:233]
	v_mul_f64 v[232:233], v[133:134], s[6:7]
	v_mul_f64 v[133:134], v[133:134], s[30:31]
	v_fma_f64 v[117:118], v[117:118], s[26:27], v[230:231]
	v_add_f64 v[82:83], v[107:108], v[82:83]
	v_fma_f64 v[91:92], v[91:92], s[6:7], -v[123:124]
	v_add_f64 v[147:148], v[179:180], v[147:148]
	v_add_f64 v[165:166], v[198:199], -v[165:166]
	v_add_f64 v[175:176], v[175:176], v[177:178]
	v_mul_f64 v[115:116], v[115:116], s[36:37]
	v_add_f64 v[248:249], v[12:13], v[76:77]
	v_add_f64 v[18:19], v[18:19], v[22:23]
	;; [unrolled: 1-line block ×3, first 2 shown]
	v_mul_f64 v[218:219], v[97:98], s[18:19]
	v_mul_f64 v[224:225], v[97:98], s[30:31]
	;; [unrolled: 1-line block ×4, first 2 shown]
	v_fma_f64 v[246:247], v[119:120], s[22:23], v[238:239]
	v_add_f64 v[220:221], v[240:241], v[220:221]
	v_mul_f64 v[107:108], v[153:154], s[30:31]
	v_mul_f64 v[123:124], v[153:154], s[18:19]
	;; [unrolled: 1-line block ×4, first 2 shown]
	v_fma_f64 v[119:120], v[119:120], s[36:37], v[238:239]
	v_mul_f64 v[153:154], v[153:154], s[4:5]
	v_add_f64 v[82:83], v[117:118], v[82:83]
	v_fma_f64 v[97:98], v[97:98], s[24:25], -v[137:138]
	v_fma_f64 v[137:138], v[111:112], s[4:5], v[115:116]
	v_add_f64 v[91:92], v[91:92], v[248:249]
	v_add_f64 v[133:134], v[171:172], v[133:134]
	v_add_f64 v[161:162], v[214:215], -v[161:162]
	v_add_f64 v[165:166], v[12:13], v[165:166]
	v_add_f64 v[147:148], v[147:148], v[175:176]
	;; [unrolled: 1-line block ×4, first 2 shown]
	v_mul_f64 v[244:245], v[111:112], s[24:25]
	v_mul_f64 v[240:241], v[111:112], s[18:19]
	v_add_f64 v[220:221], v[246:247], v[220:221]
	v_mul_f64 v[246:247], v[111:112], s[6:7]
	v_mul_f64 v[200:201], v[111:112], s[30:31]
	v_fma_f64 v[198:199], v[141:142], s[28:29], v[123:124]
	v_mul_f64 v[145:146], v[145:146], s[16:17]
	v_fma_f64 v[123:124], v[141:142], s[16:17], v[123:124]
	v_add_f64 v[82:83], v[119:120], v[82:83]
	v_fma_f64 v[111:112], v[111:112], s[4:5], -v[115:116]
	v_add_f64 v[91:92], v[97:98], v[91:92]
	v_add_f64 v[97:98], v[173:174], v[153:154]
	v_add_f64 v[115:116], v[242:243], -v[167:168]
	v_add_f64 v[119:120], v[161:162], v[165:166]
	v_add_f64 v[133:134], v[133:134], v[147:148]
	;; [unrolled: 1-line block ×6, first 2 shown]
	v_mul_f64 v[230:231], v[135:136], s[30:31]
	v_mul_f64 v[216:217], v[135:136], s[6:7]
	;; [unrolled: 1-line block ×4, first 2 shown]
	v_fma_f64 v[117:118], v[135:136], s[18:19], v[145:146]
	v_add_f64 v[82:83], v[123:124], v[82:83]
	v_fma_f64 v[123:124], v[135:136], s[18:19], -v[145:146]
	v_add_f64 v[111:112], v[111:112], v[91:92]
	v_add_f64 v[135:136], v[200:201], -v[163:164]
	v_add_f64 v[115:116], v[115:116], v[119:120]
	v_add_f64 v[91:92], v[97:98], v[133:134]
	;; [unrolled: 1-line block ×8, first 2 shown]
	v_add_f64 v[32:33], v[186:187], -v[60:61]
	v_add_f64 v[121:122], v[194:195], -v[121:122]
	;; [unrolled: 1-line block ×3, first 2 shown]
	v_add_f64 v[115:116], v[135:136], v[115:116]
	v_add_f64 v[135:136], v[143:144], v[234:235]
	;; [unrolled: 1-line block ×9, first 2 shown]
	v_add_f64 v[62:63], v[202:203], -v[62:63]
	v_add_f64 v[32:33], v[12:13], v[32:33]
	v_add_f64 v[121:122], v[12:13], v[121:122]
	v_add_f64 v[60:61], v[206:207], -v[86:87]
	v_add_f64 v[12:13], v[12:13], v[34:35]
	v_add_f64 v[22:23], v[210:211], -v[127:128]
	v_add_f64 v[20:21], v[151:152], v[232:233]
	v_add_f64 v[97:98], v[135:136], v[97:98]
	v_add_f64 v[103:104], v[103:104], v[226:227]
	v_add_f64 v[99:100], v[99:100], v[119:120]
	v_add_f64 v[18:19], v[18:19], v[42:43]
	v_add_f64 v[16:17], v[16:17], v[40:41]
	v_add_f64 v[36:37], v[70:71], v[222:223]
	v_add_f64 v[14:15], v[64:65], v[14:15]
	v_add_f64 v[38:39], v[218:219], -v[68:69]
	v_add_f64 v[32:33], v[62:63], v[32:33]
	v_add_f64 v[34:35], v[224:225], -v[89:90]
	v_add_f64 v[12:13], v[60:61], v[12:13]
	v_add_f64 v[26:27], v[228:229], -v[129:130]
	v_add_f64 v[22:23], v[22:23], v[121:122]
	v_add_f64 v[20:21], v[20:21], v[97:98]
	v_add_f64 v[97:98], v[105:106], v[131:132]
	v_add_f64 v[99:100], v[103:104], v[99:100]
	v_add_f64 v[18:19], v[18:19], v[46:47]
	v_add_f64 v[16:17], v[16:17], v[44:45]
	v_add_f64 v[42:43], v[74:75], v[236:237]
	v_add_f64 v[14:15], v[36:37], v[14:15]
	v_add_f64 v[36:37], v[244:245], -v[72:73]
	;; [unrolled: 13-line block ×3, first 2 shown]
	v_add_f64 v[32:33], v[36:37], v[32:33]
	v_add_f64 v[34:35], v[216:217], -v[101:102]
	v_add_f64 v[12:13], v[40:41], v[12:13]
	v_add_f64 v[28:29], v[179:180], -v[149:150]
	;; [unrolled: 2-line block ×3, first 2 shown]
	v_add_f64 v[14:15], v[24:25], v[20:21]
	v_add_f64 v[18:19], v[26:27], v[95:96]
	;; [unrolled: 1-line block ×12, first 2 shown]
	v_add_lshl_u32 v28, v183, v185, 4
	ds_write_b128 v28, v[24:27]
	ds_write_b128 v28, v[20:23] offset:16
	ds_write_b128 v28, v[16:19] offset:32
	ds_write_b128 v28, v[12:15] offset:48
	ds_write_b128 v28, v[89:92] offset:64
	ds_write_b128 v28, v[80:83] offset:80
	ds_write_b128 v28, v[74:77] offset:96
	ds_write_b128 v28, v[52:55] offset:112
	ds_write_b128 v28, v[0:3] offset:128
	ds_write_b128 v28, v[4:7] offset:144
	ds_write_b128 v28, v[8:11] offset:160
.LBB0_7:
	s_or_b64 exec, exec, s[20:21]
	v_add_co_u32_e32 v36, vcc, -11, v181
	s_load_dwordx4 s[4:7], s[2:3], 0x0
	v_addc_co_u32_e64 v37, s[2:3], 0, -1, vcc
	v_cmp_gt_u16_e64 s[2:3], 11, v181
	v_cndmask_b32_e64 v95, v36, v181, s[2:3]
	v_mul_hi_i32_i24_e32 v13, 6, v95
	v_mul_i32_i24_e32 v12, 6, v95
	v_lshlrev_b64 v[12:13], 4, v[12:13]
	v_mov_b32_e32 v14, s9
	v_add_co_u32_e32 v38, vcc, s8, v12
	v_addc_co_u32_e32 v39, vcc, v14, v13, vcc
	s_waitcnt lgkmcnt(0)
	s_barrier
	global_load_dwordx4 v[24:27], v[38:39], off
	global_load_dwordx4 v[20:23], v[38:39], off offset:16
	global_load_dwordx4 v[16:19], v[38:39], off offset:32
	;; [unrolled: 1-line block ×5, first 2 shown]
	v_add_lshl_u32 v150, v183, v181, 4
	ds_read_b128 v[38:41], v150
	ds_read_b128 v[42:45], v150 offset:352
	ds_read_b128 v[46:49], v150 offset:704
	;; [unrolled: 1-line block ×6, first 2 shown]
	s_mov_b32 s16, 0x37e14327
	s_mov_b32 s10, 0x36b3c0b5
	;; [unrolled: 1-line block ×16, first 2 shown]
	v_cmp_lt_u16_e32 vcc, 10, v181
	s_waitcnt vmcnt(0) lgkmcnt(0)
	s_barrier
	v_mul_f64 v[50:51], v[44:45], v[26:27]
	v_mul_f64 v[72:73], v[42:43], v[26:27]
	;; [unrolled: 1-line block ×12, first 2 shown]
	v_fma_f64 v[42:43], v[42:43], v[24:25], -v[50:51]
	v_fma_f64 v[44:45], v[44:45], v[24:25], v[72:73]
	v_fma_f64 v[46:47], v[46:47], v[20:21], -v[74:75]
	v_fma_f64 v[48:49], v[48:49], v[20:21], v[76:77]
	;; [unrolled: 2-line block ×6, first 2 shown]
	v_add_f64 v[70:71], v[42:43], v[50:51]
	v_add_f64 v[72:73], v[44:45], v[68:69]
	v_add_f64 v[42:43], v[42:43], -v[50:51]
	v_add_f64 v[44:45], v[44:45], -v[68:69]
	v_add_f64 v[50:51], v[46:47], v[64:65]
	v_add_f64 v[68:69], v[48:49], v[66:67]
	v_add_f64 v[46:47], v[46:47], -v[64:65]
	v_add_f64 v[48:49], v[48:49], -v[66:67]
	;; [unrolled: 4-line block ×4, first 2 shown]
	v_add_f64 v[70:71], v[70:71], -v[64:65]
	v_add_f64 v[72:73], v[72:73], -v[66:67]
	;; [unrolled: 1-line block ×4, first 2 shown]
	v_add_f64 v[78:79], v[56:57], v[46:47]
	v_add_f64 v[80:81], v[58:59], v[48:49]
	v_add_f64 v[82:83], v[56:57], -v[46:47]
	v_add_f64 v[84:85], v[58:59], -v[48:49]
	v_add_f64 v[60:61], v[64:65], v[60:61]
	v_add_f64 v[62:63], v[66:67], v[62:63]
	v_add_f64 v[46:47], v[46:47], -v[42:43]
	v_add_f64 v[48:49], v[48:49], -v[44:45]
	;; [unrolled: 1-line block ×4, first 2 shown]
	v_add_f64 v[42:43], v[78:79], v[42:43]
	v_add_f64 v[44:45], v[80:81], v[44:45]
	v_mul_f64 v[64:65], v[70:71], s[16:17]
	v_mul_f64 v[66:67], v[72:73], s[16:17]
	;; [unrolled: 1-line block ×6, first 2 shown]
	v_add_f64 v[38:39], v[38:39], v[60:61]
	v_add_f64 v[40:41], v[40:41], v[62:63]
	v_mul_f64 v[82:83], v[46:47], s[18:19]
	v_mul_f64 v[84:85], v[48:49], s[18:19]
	v_fma_f64 v[50:51], v[50:51], s[10:11], v[64:65]
	v_fma_f64 v[68:69], v[68:69], s[10:11], v[66:67]
	v_fma_f64 v[70:71], v[74:75], s[24:25], -v[70:71]
	v_fma_f64 v[72:73], v[76:77], s[24:25], -v[72:73]
	s_mov_b32 s25, 0xbfe77f67
	v_fma_f64 v[86:87], v[56:57], s[26:27], v[78:79]
	v_fma_f64 v[89:90], v[58:59], s[26:27], v[80:81]
	s_mov_b32 s27, 0xbfd5d0dc
	v_fma_f64 v[60:61], v[60:61], s[20:21], v[38:39]
	v_fma_f64 v[62:63], v[62:63], s[20:21], v[40:41]
	v_fma_f64 v[64:65], v[74:75], s[24:25], -v[64:65]
	v_fma_f64 v[66:67], v[76:77], s[24:25], -v[66:67]
	;; [unrolled: 1-line block ×6, first 2 shown]
	v_fma_f64 v[74:75], v[42:43], s[28:29], v[86:87]
	v_fma_f64 v[76:77], v[44:45], s[28:29], v[89:90]
	v_add_f64 v[50:51], v[50:51], v[60:61]
	v_add_f64 v[68:69], v[68:69], v[62:63]
	v_fma_f64 v[82:83], v[42:43], s[28:29], v[56:57]
	v_fma_f64 v[84:85], v[44:45], s[28:29], v[58:59]
	v_add_f64 v[64:65], v[64:65], v[60:61]
	v_add_f64 v[66:67], v[66:67], v[62:63]
	;; [unrolled: 4-line block ×3, first 2 shown]
	v_add_f64 v[42:43], v[76:77], v[50:51]
	v_add_f64 v[44:45], v[68:69], -v[74:75]
	v_add_f64 v[46:47], v[84:85], v[64:65]
	v_add_f64 v[48:49], v[66:67], -v[82:83]
	v_add_f64 v[64:65], v[64:65], -v[84:85]
	v_add_f64 v[66:67], v[82:83], v[66:67]
	v_add_f64 v[56:57], v[60:61], -v[80:81]
	v_add_f64 v[58:59], v[78:79], v[62:63]
	v_add_f64 v[60:61], v[80:81], v[60:61]
	v_add_f64 v[62:63], v[62:63], -v[78:79]
	v_add_f64 v[80:81], v[50:51], -v[76:77]
	v_mov_b32_e32 v50, 0x4d
	v_cndmask_b32_e32 v50, 0, v50, vcc
	v_add_f64 v[82:83], v[74:75], v[68:69]
	v_add_u32_e32 v50, v95, v50
	v_add_lshl_u32 v151, v183, v50, 4
	ds_write_b128 v151, v[38:41]
	ds_write_b128 v151, v[42:45] offset:176
	ds_write_b128 v151, v[46:49] offset:352
	ds_write_b128 v151, v[56:59] offset:528
	ds_write_b128 v151, v[60:63] offset:704
	ds_write_b128 v151, v[64:67] offset:880
	ds_write_b128 v151, v[80:83] offset:1056
	s_waitcnt lgkmcnt(0)
	s_barrier
	ds_read_b128 v[64:67], v150
	ds_read_b128 v[72:75], v150 offset:352
	ds_read_b128 v[56:59], v150 offset:1232
	;; [unrolled: 1-line block ×5, first 2 shown]
	s_and_saveexec_b64 s[10:11], s[2:3]
	s_cbranch_execz .LBB0_9
; %bb.8:
	ds_read_b128 v[80:83], v150 offset:1056
	ds_read_b128 v[52:55], v150 offset:2288
	v_add_co_u32_e32 v36, vcc, 0x42, v181
	v_addc_co_u32_e64 v37, s[16:17], 0, 0, vcc
.LBB0_9:
	s_or_b64 exec, exec, s[10:11]
	v_lshlrev_b64 v[36:37], 4, v[36:37]
	v_mov_b32_e32 v38, s9
	v_add_co_u32_e32 v36, vcc, s8, v36
	v_addc_co_u32_e32 v37, vcc, v38, v37, vcc
	global_load_dwordx4 v[40:43], v182, s[8:9] offset:1056
	global_load_dwordx4 v[44:47], v182, s[8:9] offset:1408
	global_load_dwordx4 v[48:51], v182, s[8:9] offset:1760
	v_lshl_add_u32 v149, v181, 4, v184
	global_load_dwordx4 v[36:39], v[36:37], off offset:1056
	v_add_u32_e32 v152, v182, v184
	s_waitcnt vmcnt(3) lgkmcnt(3)
	v_mul_f64 v[76:77], v[58:59], v[42:43]
	v_mul_f64 v[78:79], v[56:57], v[42:43]
	s_waitcnt vmcnt(2) lgkmcnt(1)
	v_mul_f64 v[89:90], v[70:71], v[46:47]
	v_mul_f64 v[91:92], v[68:69], v[46:47]
	s_waitcnt vmcnt(1) lgkmcnt(0)
	v_mul_f64 v[93:94], v[62:63], v[50:51]
	v_mul_f64 v[95:96], v[60:61], v[50:51]
	s_waitcnt vmcnt(0)
	v_mul_f64 v[97:98], v[54:55], v[38:39]
	v_mul_f64 v[99:100], v[52:53], v[38:39]
	v_fma_f64 v[56:57], v[56:57], v[40:41], -v[76:77]
	v_fma_f64 v[58:59], v[58:59], v[40:41], v[78:79]
	v_fma_f64 v[68:69], v[68:69], v[44:45], -v[89:90]
	v_fma_f64 v[70:71], v[70:71], v[44:45], v[91:92]
	;; [unrolled: 2-line block ×4, first 2 shown]
	v_add_f64 v[56:57], v[64:65], -v[56:57]
	v_add_f64 v[58:59], v[66:67], -v[58:59]
	;; [unrolled: 1-line block ×8, first 2 shown]
	v_fma_f64 v[52:53], v[64:65], 2.0, -v[56:57]
	v_fma_f64 v[54:55], v[66:67], 2.0, -v[58:59]
	;; [unrolled: 1-line block ×8, first 2 shown]
	ds_write_b128 v149, v[56:59] offset:1232
	ds_write_b128 v149, v[60:63] offset:1584
	ds_write_b128 v149, v[52:55]
	ds_write_b128 v149, v[64:67] offset:352
	ds_write_b128 v149, v[72:75] offset:704
	;; [unrolled: 1-line block ×3, first 2 shown]
	s_and_saveexec_b64 s[8:9], s[2:3]
	s_cbranch_execz .LBB0_11
; %bb.10:
	ds_write_b128 v149, v[80:83] offset:1056
	ds_write_b128 v149, v[76:79] offset:2288
.LBB0_11:
	s_or_b64 exec, exec, s[8:9]
	s_waitcnt lgkmcnt(0)
	s_barrier
	s_and_saveexec_b64 s[8:9], s[0:1]
	s_cbranch_execz .LBB0_13
; %bb.12:
	global_load_dwordx4 v[84:87], v182, s[14:15] offset:2464
	s_add_u32 s10, s14, 0x9a0
	s_addc_u32 s11, s15, 0
	global_load_dwordx4 v[89:92], v182, s[10:11] offset:224
	global_load_dwordx4 v[93:96], v182, s[10:11] offset:448
	;; [unrolled: 1-line block ×10, first 2 shown]
	ds_read_b128 v[129:132], v149
	ds_read_b128 v[133:136], v149 offset:224
	ds_read_b128 v[137:140], v149 offset:448
	;; [unrolled: 1-line block ×10, first 2 shown]
	s_waitcnt vmcnt(9) lgkmcnt(9)
	v_mul_f64 v[179:180], v[135:136], v[91:92]
	v_mul_f64 v[91:92], v[133:134], v[91:92]
	s_waitcnt vmcnt(8) lgkmcnt(8)
	v_mul_f64 v[186:187], v[139:140], v[95:96]
	v_mul_f64 v[95:96], v[137:138], v[95:96]
	;; [unrolled: 3-line block ×3, first 2 shown]
	v_mul_f64 v[177:178], v[131:132], v[86:87]
	v_mul_f64 v[86:87], v[129:130], v[86:87]
	s_waitcnt vmcnt(6) lgkmcnt(6)
	v_mul_f64 v[190:191], v[147:148], v[103:104]
	v_mul_f64 v[103:104], v[145:146], v[103:104]
	s_waitcnt vmcnt(5) lgkmcnt(5)
	;; [unrolled: 3-line block ×7, first 2 shown]
	v_mul_f64 v[202:203], v[175:176], v[127:128]
	v_mul_f64 v[204:205], v[173:174], v[127:128]
	v_fma_f64 v[127:128], v[129:130], v[84:85], -v[177:178]
	v_fma_f64 v[129:130], v[131:132], v[84:85], v[86:87]
	v_fma_f64 v[84:85], v[133:134], v[89:90], -v[179:180]
	v_fma_f64 v[86:87], v[135:136], v[89:90], v[91:92]
	;; [unrolled: 2-line block ×11, first 2 shown]
	ds_write_b128 v149, v[127:130]
	ds_write_b128 v149, v[84:87] offset:224
	ds_write_b128 v149, v[89:92] offset:448
	;; [unrolled: 1-line block ×10, first 2 shown]
.LBB0_13:
	s_or_b64 exec, exec, s[8:9]
	s_waitcnt lgkmcnt(0)
	s_barrier
	s_and_saveexec_b64 s[8:9], s[0:1]
	s_cbranch_execz .LBB0_15
; %bb.14:
	ds_read_b128 v[52:55], v149
	ds_read_b128 v[56:59], v149 offset:224
	ds_read_b128 v[64:67], v149 offset:448
	ds_read_b128 v[60:63], v149 offset:672
	ds_read_b128 v[72:75], v149 offset:896
	ds_read_b128 v[68:71], v149 offset:1120
	ds_read_b128 v[80:83], v149 offset:1344
	ds_read_b128 v[76:79], v149 offset:1568
	ds_read_b128 v[0:3], v149 offset:1792
	ds_read_b128 v[4:7], v149 offset:2016
	ds_read_b128 v[8:11], v149 offset:2240
.LBB0_15:
	s_or_b64 exec, exec, s[8:9]
	s_waitcnt lgkmcnt(0)
	v_add_f64 v[91:92], v[58:59], v[10:11]
	s_mov_b32 s8, 0x7f775887
	s_mov_b32 s9, 0xbfe4f49e
	v_add_f64 v[93:94], v[58:59], -v[10:11]
	v_add_f64 v[123:124], v[56:57], -v[8:9]
	v_add_f64 v[97:98], v[66:67], v[6:7]
	s_mov_b32 s10, 0xbb3a28a1
	s_mov_b32 s18, 0x640f44db
	v_mul_f64 v[133:134], v[91:92], s[8:9]
	s_mov_b32 s11, 0xbfe82f19
	s_mov_b32 s19, 0xbfc2375f
	v_add_f64 v[89:90], v[56:57], v[8:9]
	v_mul_f64 v[129:130], v[93:94], s[10:11]
	v_add_f64 v[99:100], v[66:67], -v[6:7]
	v_add_f64 v[109:110], v[64:65], -v[4:5]
	v_mul_f64 v[141:142], v[97:98], s[18:19]
	v_fma_f64 v[86:87], v[123:124], s[10:11], v[133:134]
	v_add_f64 v[103:104], v[62:63], v[2:3]
	s_mov_b32 s34, 0x43842ef
	s_mov_b32 s22, 0x8764f0ba
	;; [unrolled: 1-line block ×4, first 2 shown]
	v_add_f64 v[95:96], v[64:65], v[4:5]
	v_fma_f64 v[84:85], v[89:90], s[8:9], -v[129:130]
	v_mul_f64 v[131:132], v[99:100], s[34:35]
	v_add_f64 v[86:87], v[54:55], v[86:87]
	v_fma_f64 v[111:112], v[109:110], s[34:35], v[141:142]
	v_add_f64 v[105:106], v[62:63], -v[2:3]
	v_add_f64 v[117:118], v[60:61], -v[0:1]
	v_mul_f64 v[143:144], v[103:104], s[22:23]
	s_mov_b32 s24, 0xf8bb580b
	s_mov_b32 s25, 0xbfe14ced
	v_fma_f64 v[107:108], v[95:96], s[18:19], -v[131:132]
	v_add_f64 v[84:85], v[52:53], v[84:85]
	v_add_f64 v[101:102], v[60:61], v[0:1]
	v_mul_f64 v[135:136], v[105:106], s[24:25]
	v_add_f64 v[86:87], v[111:112], v[86:87]
	v_fma_f64 v[115:116], v[117:118], s[24:25], v[143:144]
	v_add_f64 v[119:120], v[74:75], -v[78:79]
	v_add_f64 v[111:112], v[74:75], v[78:79]
	s_mov_b32 s20, 0x9bcd5057
	s_mov_b32 s26, 0xfd768dbf
	;; [unrolled: 1-line block ×4, first 2 shown]
	v_add_f64 v[84:85], v[107:108], v[84:85]
	v_fma_f64 v[113:114], v[101:102], s[22:23], -v[135:136]
	v_add_f64 v[107:108], v[72:73], v[76:77]
	v_add_f64 v[121:122], v[72:73], -v[76:77]
	v_mul_f64 v[137:138], v[119:120], s[26:27]
	v_mul_f64 v[145:146], v[111:112], s[20:21]
	v_add_f64 v[86:87], v[115:116], v[86:87]
	v_add_f64 v[125:126], v[70:71], -v[82:83]
	v_add_f64 v[115:116], v[70:71], v[82:83]
	s_mov_b32 s28, 0xd9c712b6
	s_mov_b32 s29, 0x3fda9628
	;; [unrolled: 1-line block ×4, first 2 shown]
	v_add_f64 v[84:85], v[113:114], v[84:85]
	v_fma_f64 v[153:154], v[107:108], s[20:21], -v[137:138]
	v_fma_f64 v[155:156], v[121:122], s[26:27], v[145:146]
	v_add_f64 v[113:114], v[68:69], v[80:81]
	v_add_f64 v[127:128], v[68:69], -v[80:81]
	v_mul_f64 v[139:140], v[125:126], s[30:31]
	v_mul_f64 v[147:148], v[115:116], s[28:29]
	s_barrier
	v_add_f64 v[84:85], v[153:154], v[84:85]
	v_add_f64 v[86:87], v[155:156], v[86:87]
	v_fma_f64 v[153:154], v[113:114], s[28:29], -v[139:140]
	v_fma_f64 v[155:156], v[127:128], s[30:31], v[147:148]
	v_add_f64 v[84:85], v[153:154], v[84:85]
	v_add_f64 v[86:87], v[155:156], v[86:87]
	s_and_saveexec_b64 s[16:17], s[0:1]
	s_cbranch_execz .LBB0_17
; %bb.16:
	v_mul_f64 v[153:154], v[123:124], s[26:27]
	s_mov_b32 s38, s24
	v_mul_f64 v[163:164], v[109:110], s[38:39]
	v_mul_f64 v[177:178], v[117:118], s[10:11]
	;; [unrolled: 1-line block ×6, first 2 shown]
	v_fma_f64 v[165:166], v[91:92], s[20:21], v[153:154]
	v_fma_f64 v[153:154], v[91:92], s[20:21], -v[153:154]
	v_fma_f64 v[179:180], v[97:98], s[22:23], v[163:164]
	v_fma_f64 v[194:195], v[103:104], s[8:9], v[177:178]
	v_fma_f64 v[196:197], v[89:90], s[20:21], -v[188:189]
	v_fma_f64 v[188:189], v[89:90], s[20:21], v[188:189]
	v_fma_f64 v[163:164], v[97:98], s[22:23], -v[163:164]
	v_add_f64 v[133:134], v[133:134], -v[157:158]
	v_add_f64 v[165:166], v[54:55], v[165:166]
	v_add_f64 v[153:154], v[54:55], v[153:154]
	v_mul_f64 v[155:156], v[89:90], s[8:9]
	v_mul_f64 v[169:170], v[117:118], s[24:25]
	v_mul_f64 v[190:191], v[121:122], s[30:31]
	v_add_f64 v[188:189], v[52:53], v[188:189]
	v_mul_f64 v[192:193], v[119:120], s[30:31]
	v_add_f64 v[196:197], v[52:53], v[196:197]
	v_add_f64 v[165:166], v[179:180], v[165:166]
	v_mul_f64 v[179:180], v[99:100], s[38:39]
	v_fma_f64 v[177:178], v[103:104], s[8:9], -v[177:178]
	v_add_f64 v[153:154], v[163:164], v[153:154]
	v_fma_f64 v[157:158], v[101:102], s[8:9], v[198:199]
	v_add_f64 v[141:142], v[141:142], -v[161:162]
	v_add_f64 v[133:134], v[54:55], v[133:134]
	s_mov_b32 s37, 0xbfefac9e
	v_add_f64 v[165:166], v[194:195], v[165:166]
	v_fma_f64 v[194:195], v[95:96], s[22:23], -v[179:180]
	v_fma_f64 v[179:180], v[95:96], s[22:23], v[179:180]
	s_mov_b32 s36, s34
	v_mul_f64 v[159:160], v[95:96], s[18:19]
	v_mul_f64 v[173:174], v[121:122], s[26:27]
	;; [unrolled: 1-line block ×3, first 2 shown]
	v_fma_f64 v[202:203], v[111:112], s[28:29], v[190:191]
	v_fma_f64 v[190:191], v[111:112], s[28:29], -v[190:191]
	v_add_f64 v[194:195], v[194:195], v[196:197]
	v_add_f64 v[163:164], v[179:180], v[188:189]
	v_mul_f64 v[196:197], v[125:126], s[36:37]
	v_add_f64 v[153:154], v[177:178], v[153:154]
	v_fma_f64 v[161:162], v[107:108], s[28:29], v[192:193]
	v_add_f64 v[143:144], v[143:144], -v[169:170]
	v_add_f64 v[129:130], v[155:156], v[129:130]
	v_add_f64 v[141:142], v[141:142], v[133:134]
	v_mul_f64 v[167:168], v[101:102], s[22:23]
	v_add_f64 v[157:158], v[157:158], v[163:164]
	v_mul_f64 v[186:187], v[127:128], s[30:31]
	v_fma_f64 v[204:205], v[101:102], s[8:9], -v[198:199]
	v_fma_f64 v[177:178], v[115:116], s[18:19], -v[200:201]
	v_add_f64 v[153:154], v[190:191], v[153:154]
	v_fma_f64 v[155:156], v[113:114], s[18:19], v[196:197]
	v_add_f64 v[145:146], v[145:146], -v[173:174]
	v_add_f64 v[159:160], v[159:160], v[131:132]
	v_add_f64 v[157:158], v[161:162], v[157:158]
	;; [unrolled: 1-line block ×4, first 2 shown]
	v_mul_f64 v[171:172], v[107:108], s[20:21]
	v_mul_f64 v[175:176], v[113:114], s[28:29]
	v_add_f64 v[165:166], v[202:203], v[165:166]
	v_fma_f64 v[202:203], v[107:108], s[28:29], -v[192:193]
	v_add_f64 v[179:180], v[204:205], v[194:195]
	v_add_f64 v[143:144], v[177:178], v[153:154]
	;; [unrolled: 1-line block ×3, first 2 shown]
	v_add_f64 v[147:148], v[147:148], -v[186:187]
	v_add_f64 v[135:136], v[167:168], v[135:136]
	v_mul_f64 v[153:154], v[123:124], s[36:37]
	v_add_f64 v[129:130], v[159:160], v[129:130]
	v_add_f64 v[145:146], v[145:146], v[161:162]
	v_mul_f64 v[157:158], v[93:94], s[36:37]
	s_mov_b32 s41, 0x3fd207e7
	s_mov_b32 s40, s26
	v_fma_f64 v[206:207], v[115:116], s[18:19], v[200:201]
	v_fma_f64 v[188:189], v[113:114], s[18:19], -v[196:197]
	v_add_f64 v[163:164], v[202:203], v[179:180]
	v_add_f64 v[155:156], v[171:172], v[137:138]
	v_mul_f64 v[159:160], v[109:110], s[40:41]
	v_fma_f64 v[161:162], v[91:92], s[18:19], v[153:154]
	v_add_f64 v[129:130], v[135:136], v[129:130]
	v_add_f64 v[137:138], v[147:148], v[145:146]
	v_add_f64 v[135:136], v[175:176], v[139:140]
	v_mul_f64 v[139:140], v[99:100], s[40:41]
	v_fma_f64 v[145:146], v[89:90], s[18:19], -v[157:158]
	v_add_f64 v[133:134], v[206:207], v[165:166]
	v_add_f64 v[131:132], v[188:189], v[163:164]
	v_mul_f64 v[147:148], v[117:118], s[30:31]
	v_fma_f64 v[163:164], v[97:98], s[20:21], v[159:160]
	v_add_f64 v[161:162], v[54:55], v[161:162]
	v_add_f64 v[129:130], v[155:156], v[129:130]
	v_mul_f64 v[155:156], v[105:106], s[30:31]
	v_fma_f64 v[153:154], v[91:92], s[18:19], -v[153:154]
	v_fma_f64 v[165:166], v[95:96], s[20:21], -v[139:140]
	v_add_f64 v[145:146], v[52:53], v[145:146]
	v_fma_f64 v[169:170], v[103:104], s[28:29], v[147:148]
	v_fma_f64 v[159:160], v[97:98], s[20:21], -v[159:160]
	v_add_f64 v[161:162], v[163:164], v[161:162]
	v_mul_f64 v[163:164], v[119:120], s[24:25]
	v_fma_f64 v[171:172], v[101:102], s[28:29], -v[155:156]
	v_add_f64 v[153:154], v[54:55], v[153:154]
	v_mul_f64 v[167:168], v[121:122], s[24:25]
	v_add_f64 v[145:146], v[165:166], v[145:146]
	v_fma_f64 v[147:148], v[103:104], s[28:29], -v[147:148]
	v_fma_f64 v[157:158], v[89:90], s[18:19], v[157:158]
	v_add_f64 v[161:162], v[169:170], v[161:162]
	v_mul_f64 v[169:170], v[125:126], s[10:11]
	v_mul_f64 v[165:166], v[127:128], s[10:11]
	v_add_f64 v[153:154], v[159:160], v[153:154]
	v_fma_f64 v[159:160], v[107:108], s[22:23], -v[163:164]
	v_add_f64 v[145:146], v[171:172], v[145:146]
	v_fma_f64 v[173:174], v[111:112], s[22:23], v[167:168]
	v_fma_f64 v[139:140], v[95:96], s[20:21], v[139:140]
	v_add_f64 v[157:158], v[52:53], v[157:158]
	v_add_f64 v[135:136], v[135:136], v[129:130]
	v_fma_f64 v[129:130], v[115:116], s[8:9], v[165:166]
	v_add_f64 v[147:148], v[147:148], v[153:154]
	v_fma_f64 v[153:154], v[113:114], s[8:9], -v[169:170]
	v_add_f64 v[145:146], v[159:160], v[145:146]
	v_add_f64 v[161:162], v[173:174], v[161:162]
	v_fma_f64 v[167:168], v[111:112], s[22:23], -v[167:168]
	v_add_f64 v[139:140], v[139:140], v[157:158]
	s_mov_b32 s31, 0xbfed1bb4
	v_add_f64 v[58:59], v[54:55], v[58:59]
	v_add_f64 v[56:57], v[52:53], v[56:57]
	v_fma_f64 v[159:160], v[115:116], s[8:9], -v[165:166]
	v_add_f64 v[145:146], v[153:154], v[145:146]
	v_fma_f64 v[153:154], v[101:102], s[28:29], v[155:156]
	v_mul_f64 v[165:166], v[123:124], s[30:31]
	v_add_f64 v[167:168], v[167:168], v[147:148]
	v_add_f64 v[147:148], v[129:130], v[161:162]
	v_mul_f64 v[129:130], v[93:94], s[30:31]
	v_fma_f64 v[157:158], v[107:108], s[22:23], v[163:164]
	v_add_f64 v[58:59], v[58:59], v[66:67]
	v_add_f64 v[64:65], v[56:57], v[64:65]
	;; [unrolled: 1-line block ×3, first 2 shown]
	v_mul_f64 v[161:162], v[109:110], s[10:11]
	v_add_f64 v[155:156], v[159:160], v[167:168]
	v_mul_f64 v[159:160], v[99:100], s[10:11]
	v_fma_f64 v[163:164], v[89:90], s[28:29], -v[129:130]
	v_mul_f64 v[167:168], v[117:118], s[40:41]
	v_add_f64 v[58:59], v[58:59], v[62:63]
	v_add_f64 v[60:61], v[64:65], v[60:61]
	;; [unrolled: 1-line block ×3, first 2 shown]
	v_fma_f64 v[157:158], v[91:92], s[28:29], -v[165:166]
	v_fma_f64 v[173:174], v[97:98], s[8:9], v[161:162]
	v_fma_f64 v[175:176], v[95:96], s[8:9], -v[159:160]
	v_add_f64 v[163:164], v[52:53], v[163:164]
	v_fma_f64 v[161:162], v[97:98], s[8:9], -v[161:162]
	v_fma_f64 v[171:172], v[91:92], s[28:29], v[165:166]
	v_add_f64 v[58:59], v[58:59], v[74:75]
	v_add_f64 v[60:61], v[60:61], v[72:73]
	;; [unrolled: 1-line block ×3, first 2 shown]
	v_fma_f64 v[153:154], v[113:114], s[8:9], v[169:170]
	v_fma_f64 v[179:180], v[103:104], s[20:21], v[167:168]
	v_add_f64 v[163:164], v[175:176], v[163:164]
	v_mul_f64 v[175:176], v[127:128], s[38:39]
	v_fma_f64 v[167:168], v[103:104], s[20:21], -v[167:168]
	v_fma_f64 v[129:130], v[89:90], s[28:29], v[129:130]
	v_mul_f64 v[123:124], v[123:124], s[24:25]
	v_add_f64 v[157:158], v[161:162], v[157:158]
	v_mul_f64 v[72:73], v[93:94], s[24:25]
	v_add_f64 v[171:172], v[54:55], v[171:172]
	;; [unrolled: 2-line block ×3, first 2 shown]
	v_add_f64 v[60:61], v[60:61], v[68:69]
	v_add_f64 v[153:154], v[153:154], v[139:140]
	v_fma_f64 v[139:140], v[115:116], s[22:23], v[175:176]
	v_fma_f64 v[159:160], v[95:96], s[8:9], v[159:160]
	v_add_f64 v[129:130], v[52:53], v[129:130]
	v_add_f64 v[157:158], v[167:168], v[157:158]
	v_fma_f64 v[167:168], v[115:116], s[22:23], -v[175:176]
	v_mul_f64 v[109:110], v[109:110], s[30:31]
	v_fma_f64 v[175:176], v[91:92], s[22:23], v[123:124]
	v_fma_f64 v[91:92], v[91:92], s[22:23], -v[123:124]
	v_mul_f64 v[93:94], v[99:100], s[30:31]
	v_fma_f64 v[68:69], v[89:90], s[22:23], v[72:73]
	v_fma_f64 v[72:73], v[89:90], s[22:23], -v[72:73]
	v_mul_f64 v[177:178], v[121:122], s[34:35]
	v_add_f64 v[171:172], v[173:174], v[171:172]
	v_fma_f64 v[173:174], v[101:102], s[20:21], -v[169:170]
	v_add_f64 v[58:59], v[58:59], v[82:83]
	v_add_f64 v[60:61], v[60:61], v[80:81]
	;; [unrolled: 1-line block ×3, first 2 shown]
	v_mul_f64 v[117:118], v[117:118], s[36:37]
	v_fma_f64 v[66:67], v[97:98], s[28:29], v[109:110]
	v_add_f64 v[159:160], v[54:55], v[175:176]
	v_mul_f64 v[70:71], v[105:106], s[36:37]
	v_fma_f64 v[89:90], v[97:98], s[28:29], -v[109:110]
	v_add_f64 v[54:55], v[54:55], v[91:92]
	v_fma_f64 v[91:92], v[95:96], s[28:29], v[93:94]
	v_add_f64 v[68:69], v[52:53], v[68:69]
	v_fma_f64 v[80:81], v[95:96], s[28:29], -v[93:94]
	v_add_f64 v[52:53], v[52:53], v[72:73]
	v_add_f64 v[163:164], v[173:174], v[163:164]
	v_fma_f64 v[173:174], v[111:112], s[18:19], -v[177:178]
	v_add_f64 v[58:59], v[58:59], v[78:79]
	v_add_f64 v[60:61], v[60:61], v[76:77]
	v_mul_f64 v[121:122], v[121:122], s[10:11]
	v_fma_f64 v[62:63], v[103:104], s[18:19], v[117:118]
	v_add_f64 v[64:65], v[66:67], v[159:160]
	v_mul_f64 v[74:75], v[119:120], s[10:11]
	v_fma_f64 v[72:73], v[103:104], s[18:19], -v[117:118]
	v_add_f64 v[54:55], v[89:90], v[54:55]
	v_fma_f64 v[82:83], v[101:102], s[18:19], v[70:71]
	v_add_f64 v[68:69], v[91:92], v[68:69]
	v_mul_f64 v[165:166], v[119:120], s[34:35]
	v_fma_f64 v[169:170], v[101:102], s[20:21], v[169:170]
	v_fma_f64 v[70:71], v[101:102], s[18:19], -v[70:71]
	v_add_f64 v[52:53], v[80:81], v[52:53]
	v_add_f64 v[157:158], v[173:174], v[157:158]
	;; [unrolled: 1-line block ×4, first 2 shown]
	v_mul_f64 v[127:128], v[127:128], s[26:27]
	v_add_f64 v[62:63], v[62:63], v[64:65]
	v_mul_f64 v[64:65], v[125:126], s[26:27]
	v_fma_f64 v[76:77], v[111:112], s[8:9], -v[121:122]
	v_add_f64 v[54:55], v[72:73], v[54:55]
	v_fma_f64 v[72:73], v[107:108], s[8:9], v[74:75]
	v_add_f64 v[58:59], v[82:83], v[68:69]
	v_add_f64 v[171:172], v[179:180], v[171:172]
	v_mul_f64 v[179:180], v[125:126], s[38:39]
	v_fma_f64 v[188:189], v[107:108], s[18:19], -v[165:166]
	v_fma_f64 v[165:166], v[107:108], s[18:19], v[165:166]
	v_add_f64 v[129:130], v[169:170], v[129:130]
	v_fma_f64 v[60:61], v[107:108], s[8:9], -v[74:75]
	v_add_f64 v[52:53], v[70:71], v[52:53]
	v_fma_f64 v[186:187], v[111:112], s[18:19], v[177:178]
	v_add_f64 v[56:57], v[167:168], v[157:158]
	v_fma_f64 v[157:158], v[111:112], s[8:9], v[121:122]
	v_add_f64 v[6:7], v[2:3], v[6:7]
	v_add_f64 v[0:1], v[0:1], v[4:5]
	v_fma_f64 v[68:69], v[115:116], s[20:21], -v[127:128]
	v_add_f64 v[54:55], v[76:77], v[54:55]
	v_fma_f64 v[70:71], v[113:114], s[20:21], v[64:65]
	v_add_f64 v[58:59], v[72:73], v[58:59]
	v_fma_f64 v[66:67], v[113:114], s[22:23], v[179:180]
	v_add_f64 v[129:130], v[165:166], v[129:130]
	v_fma_f64 v[64:65], v[113:114], s[20:21], -v[64:65]
	v_add_f64 v[52:53], v[60:61], v[52:53]
	v_add_f64 v[161:162], v[186:187], v[171:172]
	v_fma_f64 v[171:172], v[113:114], s[22:23], -v[179:180]
	v_add_f64 v[163:164], v[188:189], v[163:164]
	v_fma_f64 v[72:73], v[115:116], s[20:21], v[127:128]
	v_add_f64 v[62:63], v[157:158], v[62:63]
	v_add_f64 v[6:7], v[6:7], v[10:11]
	;; [unrolled: 1-line block ×7, first 2 shown]
	v_lshl_add_u32 v52, v185, 4, v184
	v_add_f64 v[10:11], v[139:140], v[161:162]
	v_add_f64 v[8:9], v[171:172], v[163:164]
	v_add_f64 v[60:61], v[72:73], v[62:63]
	ds_write_b128 v52, v[4:7]
	ds_write_b128 v52, v[0:3] offset:16
	ds_write_b128 v52, v[54:57] offset:32
	ds_write_b128 v52, v[153:156] offset:48
	ds_write_b128 v52, v[135:138] offset:64
	ds_write_b128 v52, v[141:144] offset:80
	ds_write_b128 v52, v[131:134] offset:96
	ds_write_b128 v52, v[84:87] offset:112
	ds_write_b128 v52, v[145:148] offset:128
	ds_write_b128 v52, v[8:11] offset:144
	ds_write_b128 v52, v[58:61] offset:160
.LBB0_17:
	s_or_b64 exec, exec, s[16:17]
	s_waitcnt lgkmcnt(0)
	s_barrier
	ds_read_b128 v[0:3], v150 offset:352
	ds_read_b128 v[4:7], v150 offset:704
	;; [unrolled: 1-line block ×3, first 2 shown]
	ds_read_b128 v[52:55], v150
	ds_read_b128 v[56:59], v150 offset:1408
	ds_read_b128 v[60:63], v150 offset:1760
	;; [unrolled: 1-line block ×3, first 2 shown]
	s_mov_b32 s8, 0x37e14327
	s_waitcnt lgkmcnt(6)
	v_mul_f64 v[68:69], v[26:27], v[2:3]
	v_mul_f64 v[26:27], v[26:27], v[0:1]
	s_waitcnt lgkmcnt(5)
	v_mul_f64 v[70:71], v[22:23], v[6:7]
	v_mul_f64 v[22:23], v[22:23], v[4:5]
	s_mov_b32 s9, 0x3fe948f6
	s_mov_b32 s10, 0xe976ee23
	s_mov_b32 s11, 0x3fe11646
	s_mov_b32 s16, 0xaaaaaaaa
	v_fma_f64 v[0:1], v[24:25], v[0:1], v[68:69]
	v_fma_f64 v[2:3], v[24:25], v[2:3], -v[26:27]
	v_fma_f64 v[4:5], v[20:21], v[4:5], v[70:71]
	v_fma_f64 v[6:7], v[20:21], v[6:7], -v[22:23]
	s_waitcnt lgkmcnt(0)
	v_mul_f64 v[20:21], v[30:31], v[66:67]
	v_mul_f64 v[22:23], v[30:31], v[64:65]
	;; [unrolled: 1-line block ×8, first 2 shown]
	v_fma_f64 v[20:21], v[28:29], v[64:65], v[20:21]
	v_fma_f64 v[22:23], v[28:29], v[66:67], -v[22:23]
	v_fma_f64 v[8:9], v[16:17], v[8:9], v[24:25]
	v_fma_f64 v[10:11], v[16:17], v[10:11], -v[18:19]
	;; [unrolled: 2-line block ×4, first 2 shown]
	v_add_f64 v[14:15], v[0:1], v[20:21]
	v_add_f64 v[26:27], v[2:3], v[22:23]
	v_add_f64 v[0:1], v[0:1], -v[20:21]
	v_add_f64 v[2:3], v[2:3], -v[22:23]
	v_add_f64 v[20:21], v[4:5], v[16:17]
	v_add_f64 v[22:23], v[6:7], v[18:19]
	v_add_f64 v[4:5], v[4:5], -v[16:17]
	v_add_f64 v[6:7], v[6:7], -v[18:19]
	;; [unrolled: 4-line block ×4, first 2 shown]
	v_add_f64 v[14:15], v[14:15], -v[16:17]
	v_add_f64 v[26:27], v[26:27], -v[18:19]
	;; [unrolled: 1-line block ×4, first 2 shown]
	v_add_f64 v[32:33], v[8:9], v[4:5]
	v_add_f64 v[34:35], v[10:11], v[6:7]
	v_add_f64 v[56:57], v[8:9], -v[4:5]
	v_add_f64 v[58:59], v[10:11], -v[6:7]
	v_add_f64 v[12:13], v[16:17], v[12:13]
	v_add_f64 v[16:17], v[18:19], v[24:25]
	v_add_f64 v[18:19], v[4:5], -v[0:1]
	v_add_f64 v[24:25], v[6:7], -v[2:3]
	v_mul_f64 v[14:15], v[14:15], s[8:9]
	v_mul_f64 v[26:27], v[26:27], s[8:9]
	s_mov_b32 s8, 0x36b3c0b5
	s_mov_b32 s9, 0x3fac98ee
	v_add_f64 v[8:9], v[0:1], -v[8:9]
	v_add_f64 v[10:11], v[2:3], -v[10:11]
	v_add_f64 v[0:1], v[32:33], v[0:1]
	v_add_f64 v[2:3], v[34:35], v[2:3]
	v_mul_f64 v[32:33], v[20:21], s[8:9]
	v_mul_f64 v[34:35], v[22:23], s[8:9]
	v_add_f64 v[4:5], v[52:53], v[12:13]
	v_add_f64 v[6:7], v[54:55], v[16:17]
	v_mul_f64 v[52:53], v[56:57], s[10:11]
	v_mul_f64 v[54:55], v[58:59], s[10:11]
	s_mov_b32 s10, 0x429ad128
	s_mov_b32 s11, 0xbfebfeb5
	v_mul_f64 v[56:57], v[18:19], s[10:11]
	v_mul_f64 v[58:59], v[24:25], s[10:11]
	v_fma_f64 v[20:21], v[20:21], s[8:9], v[14:15]
	v_fma_f64 v[22:23], v[22:23], s[8:9], v[26:27]
	s_mov_b32 s9, 0x3fe77f67
	s_mov_b32 s8, 0x5476071b
	v_fma_f64 v[32:33], v[28:29], s[8:9], -v[32:33]
	v_fma_f64 v[34:35], v[30:31], s[8:9], -v[34:35]
	s_mov_b32 s9, 0xbfe77f67
	s_mov_b32 s17, 0xbff2aaaa
	v_fma_f64 v[14:15], v[28:29], s[8:9], -v[14:15]
	v_fma_f64 v[26:27], v[30:31], s[8:9], -v[26:27]
	s_mov_b32 s9, 0xbfd5d0dc
	s_mov_b32 s8, 0xb247c609
	v_fma_f64 v[12:13], v[12:13], s[16:17], v[4:5]
	v_fma_f64 v[16:17], v[16:17], s[16:17], v[6:7]
	;; [unrolled: 1-line block ×4, first 2 shown]
	s_mov_b32 s9, 0x3fd5d0dc
	v_fma_f64 v[8:9], v[8:9], s[8:9], -v[56:57]
	v_fma_f64 v[10:11], v[10:11], s[8:9], -v[58:59]
	v_fma_f64 v[18:19], v[18:19], s[10:11], -v[52:53]
	v_fma_f64 v[24:25], v[24:25], s[10:11], -v[54:55]
	s_mov_b32 s8, 0x37c3f68c
	s_mov_b32 s9, 0xbfdc38aa
	v_add_f64 v[52:53], v[20:21], v[12:13]
	v_add_f64 v[54:55], v[22:23], v[16:17]
	v_fma_f64 v[30:31], v[2:3], s[8:9], v[30:31]
	v_fma_f64 v[28:29], v[0:1], s[8:9], v[28:29]
	v_add_f64 v[20:21], v[32:33], v[12:13]
	v_add_f64 v[22:23], v[34:35], v[16:17]
	;; [unrolled: 1-line block ×4, first 2 shown]
	v_fma_f64 v[34:35], v[2:3], s[8:9], v[10:11]
	v_fma_f64 v[56:57], v[0:1], s[8:9], v[8:9]
	;; [unrolled: 1-line block ×4, first 2 shown]
	v_add_f64 v[8:9], v[30:31], v[52:53]
	v_add_f64 v[10:11], v[54:55], -v[28:29]
	s_barrier
	v_add_f64 v[12:13], v[34:35], v[32:33]
	v_add_f64 v[14:15], v[26:27], -v[56:57]
	v_add_f64 v[16:17], v[20:21], -v[2:3]
	v_add_f64 v[18:19], v[0:1], v[22:23]
	v_add_f64 v[20:21], v[2:3], v[20:21]
	v_add_f64 v[22:23], v[22:23], -v[0:1]
	v_add_f64 v[24:25], v[32:33], -v[34:35]
	v_add_f64 v[26:27], v[56:57], v[26:27]
	v_add_f64 v[0:1], v[52:53], -v[30:31]
	v_add_f64 v[2:3], v[28:29], v[54:55]
	ds_write_b128 v151, v[4:7]
	ds_write_b128 v151, v[8:11] offset:176
	ds_write_b128 v151, v[12:15] offset:352
	;; [unrolled: 1-line block ×6, first 2 shown]
	s_waitcnt lgkmcnt(0)
	s_barrier
	ds_read_b128 v[8:11], v150
	ds_read_b128 v[12:15], v150 offset:352
	ds_read_b128 v[16:19], v150 offset:1232
	;; [unrolled: 1-line block ×5, first 2 shown]
	v_add_u32_e32 v28, 0x2c0, v152
	s_and_saveexec_b64 s[8:9], s[2:3]
	s_cbranch_execz .LBB0_19
; %bb.18:
	ds_read_b128 v[0:3], v150 offset:1056
	ds_read_b128 v[84:87], v150 offset:2288
.LBB0_19:
	s_or_b64 exec, exec, s[8:9]
	s_waitcnt lgkmcnt(3)
	v_mul_f64 v[29:30], v[42:43], v[18:19]
	v_mul_f64 v[31:32], v[42:43], v[16:17]
	s_waitcnt lgkmcnt(1)
	v_mul_f64 v[33:34], v[46:47], v[26:27]
	v_mul_f64 v[42:43], v[46:47], v[24:25]
	;; [unrolled: 3-line block ×3, first 2 shown]
	v_fma_f64 v[16:17], v[40:41], v[16:17], v[29:30]
	v_fma_f64 v[18:19], v[40:41], v[18:19], -v[31:32]
	v_fma_f64 v[24:25], v[44:45], v[24:25], v[33:34]
	v_fma_f64 v[26:27], v[44:45], v[26:27], -v[42:43]
	v_fma_f64 v[29:30], v[48:49], v[20:21], v[46:47]
	v_fma_f64 v[31:32], v[48:49], v[22:23], -v[50:51]
	v_add_f64 v[16:17], v[8:9], -v[16:17]
	v_add_f64 v[18:19], v[10:11], -v[18:19]
	;; [unrolled: 1-line block ×6, first 2 shown]
	v_fma_f64 v[8:9], v[8:9], 2.0, -v[16:17]
	v_fma_f64 v[10:11], v[10:11], 2.0, -v[18:19]
	;; [unrolled: 1-line block ×6, first 2 shown]
	ds_write_b128 v149, v[16:19] offset:1232
	ds_write_b128 v149, v[20:23] offset:1584
	ds_write_b128 v149, v[8:11]
	ds_write_b128 v149, v[12:15] offset:352
	ds_write_b128 v149, v[4:7] offset:704
	;; [unrolled: 1-line block ×3, first 2 shown]
	s_and_saveexec_b64 s[8:9], s[2:3]
	s_cbranch_execz .LBB0_21
; %bb.20:
	v_mul_f64 v[4:5], v[38:39], v[84:85]
	v_mul_f64 v[6:7], v[38:39], v[86:87]
	v_fma_f64 v[4:5], v[36:37], v[86:87], -v[4:5]
	v_fma_f64 v[8:9], v[36:37], v[84:85], v[6:7]
	v_add_f64 v[6:7], v[2:3], -v[4:5]
	v_add_f64 v[4:5], v[0:1], -v[8:9]
	v_fma_f64 v[2:3], v[2:3], 2.0, -v[6:7]
	v_fma_f64 v[0:1], v[0:1], 2.0, -v[4:5]
	ds_write_b128 v149, v[0:3] offset:1056
	ds_write_b128 v149, v[4:7] offset:2288
.LBB0_21:
	s_or_b64 exec, exec, s[8:9]
	s_waitcnt lgkmcnt(0)
	s_barrier
	s_and_b64 exec, exec, s[0:1]
	s_cbranch_execz .LBB0_23
; %bb.22:
	global_load_dwordx4 v[0:3], v182, s[14:15]
	global_load_dwordx4 v[4:7], v182, s[14:15] offset:224
	global_load_dwordx4 v[8:11], v182, s[14:15] offset:448
	;; [unrolled: 1-line block ×10, first 2 shown]
	v_mad_u64_u32 v[76:77], s[0:1], s6, v88, 0
	v_mad_u64_u32 v[78:79], s[2:3], s4, v181, 0
	s_mul_i32 s3, s5, 0xe0
	s_mul_hi_u32 s6, s4, 0xe0
	s_add_i32 s3, s6, s3
	v_mad_u64_u32 v[80:81], s[6:7], s7, v88, v[77:78]
	v_mov_b32_e32 v83, s13
	s_mul_i32 s2, s4, 0xe0
	v_mad_u64_u32 v[81:82], s[6:7], s5, v181, v[79:80]
	v_mov_b32_e32 v77, v80
	v_lshlrev_b64 v[76:77], 4, v[76:77]
	v_mov_b32_e32 v79, v81
	v_lshlrev_b64 v[78:79], 4, v[78:79]
	v_add_co_u32_e32 v100, vcc, s12, v76
	v_addc_co_u32_e32 v101, vcc, v83, v77, vcc
	v_add_co_u32_e32 v76, vcc, v100, v78
	v_addc_co_u32_e32 v77, vcc, v101, v79, vcc
	v_lshl_add_u32 v98, v183, 4, v182
	ds_read_b128 v[44:47], v149
	ds_read_b128 v[48:51], v98 offset:224
	v_mov_b32_e32 v84, s3
	v_add_co_u32_e32 v78, vcc, s2, v76
	v_addc_co_u32_e32 v79, vcc, v77, v84, vcc
	v_mov_b32_e32 v85, s3
	v_add_co_u32_e32 v80, vcc, s2, v78
	v_addc_co_u32_e32 v81, vcc, v79, v85, vcc
	;; [unrolled: 3-line block ×3, first 2 shown]
	ds_read_b128 v[52:55], v98 offset:448
	ds_read_b128 v[56:59], v98 offset:672
	;; [unrolled: 1-line block ×6, first 2 shown]
	s_mov_b32 s0, 0x606a63be
	s_mov_b32 s1, 0x3f7a98ef
	v_mov_b32_e32 v99, s3
	s_waitcnt vmcnt(10) lgkmcnt(7)
	v_mul_f64 v[84:85], v[46:47], v[2:3]
	v_mul_f64 v[2:3], v[44:45], v[2:3]
	s_waitcnt vmcnt(9) lgkmcnt(6)
	v_mul_f64 v[86:87], v[50:51], v[6:7]
	v_mul_f64 v[6:7], v[48:49], v[6:7]
	;; [unrolled: 3-line block ×6, first 2 shown]
	v_fma_f64 v[44:45], v[44:45], v[0:1], v[84:85]
	v_fma_f64 v[2:3], v[0:1], v[46:47], -v[2:3]
	v_fma_f64 v[46:47], v[48:49], v[4:5], v[86:87]
	v_fma_f64 v[6:7], v[4:5], v[50:51], -v[6:7]
	;; [unrolled: 2-line block ×4, first 2 shown]
	s_waitcnt vmcnt(4) lgkmcnt(1)
	v_mul_f64 v[96:97], v[70:71], v[26:27]
	v_fma_f64 v[52:53], v[60:61], v[16:17], v[92:93]
	v_fma_f64 v[18:19], v[16:17], v[62:63], -v[18:19]
	v_mul_f64 v[0:1], v[44:45], s[0:1]
	v_mul_f64 v[2:3], v[2:3], s[0:1]
	v_fma_f64 v[44:45], v[64:65], v[20:21], v[94:95]
	v_fma_f64 v[20:21], v[20:21], v[66:67], -v[22:23]
	v_mul_f64 v[4:5], v[46:47], s[0:1]
	v_mul_f64 v[6:7], v[6:7], s[0:1]
	;; [unrolled: 1-line block ×9, first 2 shown]
	global_store_dwordx4 v[76:77], v[0:3], off
	global_store_dwordx4 v[78:79], v[4:7], off
	;; [unrolled: 1-line block ×4, first 2 shown]
	v_mul_f64 v[0:1], v[44:45], s[0:1]
	v_mul_f64 v[2:3], v[20:21], s[0:1]
	v_fma_f64 v[6:7], v[68:69], v[24:25], v[96:97]
	v_add_co_u32_e32 v4, vcc, s2, v82
	v_addc_co_u32_e32 v5, vcc, v83, v99, vcc
	v_fma_f64 v[8:9], v[24:25], v[70:71], -v[26:27]
	s_waitcnt vmcnt(7) lgkmcnt(0)
	v_mul_f64 v[10:11], v[74:75], v[30:31]
	v_mul_f64 v[12:13], v[72:73], v[30:31]
	v_mov_b32_e32 v15, s3
	v_add_co_u32_e32 v14, vcc, s2, v4
	v_addc_co_u32_e32 v15, vcc, v5, v15, vcc
	global_store_dwordx4 v[4:5], v[16:19], off
	global_store_dwordx4 v[14:15], v[0:3], off
	v_fma_f64 v[16:17], v[72:73], v[28:29], v[10:11]
	v_mul_f64 v[0:1], v[6:7], s[0:1]
	ds_read_b128 v[4:7], v98 offset:1792
	v_mul_f64 v[2:3], v[8:9], s[0:1]
	ds_read_b128 v[8:11], v98 offset:2016
	v_fma_f64 v[12:13], v[28:29], v[74:75], -v[12:13]
	v_mov_b32_e32 v20, s3
	s_waitcnt vmcnt(8) lgkmcnt(1)
	v_mul_f64 v[18:19], v[6:7], v[34:35]
	v_add_co_u32_e32 v14, vcc, s2, v14
	v_addc_co_u32_e32 v15, vcc, v15, v20, vcc
	global_store_dwordx4 v[14:15], v[0:3], off
	v_add_co_u32_e32 v14, vcc, s2, v14
	v_mul_f64 v[0:1], v[16:17], s[0:1]
	v_mul_f64 v[2:3], v[12:13], s[0:1]
	v_fma_f64 v[12:13], v[4:5], v[32:33], v[18:19]
	v_mul_f64 v[4:5], v[4:5], v[34:35]
	v_mov_b32_e32 v16, s3
	v_or_b32_e32 v18, 0x70, v181
	v_addc_co_u32_e32 v15, vcc, v15, v16, vcc
	v_mad_u64_u32 v[16:17], s[6:7], s4, v18, 0
	global_store_dwordx4 v[14:15], v[0:3], off
	s_nop 0
	v_mul_f64 v[0:1], v[12:13], s[0:1]
	s_waitcnt vmcnt(9) lgkmcnt(0)
	v_mul_f64 v[12:13], v[10:11], v[38:39]
	v_fma_f64 v[2:3], v[32:33], v[6:7], -v[4:5]
	v_mov_b32_e32 v4, v17
	v_mad_u64_u32 v[17:18], s[6:7], s5, v18, v[4:5]
	ds_read_b128 v[4:7], v98 offset:2240
	v_mul_f64 v[18:19], v[8:9], v[38:39]
	v_lshlrev_b64 v[16:17], 4, v[16:17]
	v_fma_f64 v[8:9], v[8:9], v[36:37], v[12:13]
	v_mul_f64 v[2:3], v[2:3], s[0:1]
	s_waitcnt vmcnt(8) lgkmcnt(0)
	v_mul_f64 v[12:13], v[6:7], v[42:43]
	v_mul_f64 v[20:21], v[4:5], v[42:43]
	v_add_co_u32_e32 v16, vcc, v100, v16
	v_fma_f64 v[10:11], v[36:37], v[10:11], -v[18:19]
	v_addc_co_u32_e32 v17, vcc, v101, v17, vcc
	global_store_dwordx4 v[16:17], v[0:3], off
	v_fma_f64 v[4:5], v[4:5], v[40:41], v[12:13]
	v_fma_f64 v[6:7], v[40:41], v[6:7], -v[20:21]
	v_mul_f64 v[0:1], v[8:9], s[0:1]
	v_mov_b32_e32 v8, 0x1c0
	v_mul_f64 v[2:3], v[10:11], s[0:1]
	v_mad_u64_u32 v[8:9], s[6:7], s4, v8, v[14:15]
	s_mul_i32 s4, s5, 0x1c0
	v_mul_f64 v[4:5], v[4:5], s[0:1]
	v_mul_f64 v[6:7], v[6:7], s[0:1]
	v_add_u32_e32 v9, s4, v9
	global_store_dwordx4 v[8:9], v[0:3], off
	s_nop 0
	v_mov_b32_e32 v1, s3
	v_add_co_u32_e32 v0, vcc, s2, v8
	v_addc_co_u32_e32 v1, vcc, v9, v1, vcc
	global_store_dwordx4 v[0:1], v[4:7], off
.LBB0_23:
	s_endpgm
	.section	.rodata,"a",@progbits
	.p2align	6, 0x0
	.amdhsa_kernel bluestein_single_back_len154_dim1_dp_op_CI_CI
		.amdhsa_group_segment_fixed_size 12320
		.amdhsa_private_segment_fixed_size 0
		.amdhsa_kernarg_size 104
		.amdhsa_user_sgpr_count 6
		.amdhsa_user_sgpr_private_segment_buffer 1
		.amdhsa_user_sgpr_dispatch_ptr 0
		.amdhsa_user_sgpr_queue_ptr 0
		.amdhsa_user_sgpr_kernarg_segment_ptr 1
		.amdhsa_user_sgpr_dispatch_id 0
		.amdhsa_user_sgpr_flat_scratch_init 0
		.amdhsa_user_sgpr_private_segment_size 0
		.amdhsa_uses_dynamic_stack 0
		.amdhsa_system_sgpr_private_segment_wavefront_offset 0
		.amdhsa_system_sgpr_workgroup_id_x 1
		.amdhsa_system_sgpr_workgroup_id_y 0
		.amdhsa_system_sgpr_workgroup_id_z 0
		.amdhsa_system_sgpr_workgroup_info 0
		.amdhsa_system_vgpr_workitem_id 0
		.amdhsa_next_free_vgpr 250
		.amdhsa_next_free_sgpr 42
		.amdhsa_reserve_vcc 1
		.amdhsa_reserve_flat_scratch 0
		.amdhsa_float_round_mode_32 0
		.amdhsa_float_round_mode_16_64 0
		.amdhsa_float_denorm_mode_32 3
		.amdhsa_float_denorm_mode_16_64 3
		.amdhsa_dx10_clamp 1
		.amdhsa_ieee_mode 1
		.amdhsa_fp16_overflow 0
		.amdhsa_exception_fp_ieee_invalid_op 0
		.amdhsa_exception_fp_denorm_src 0
		.amdhsa_exception_fp_ieee_div_zero 0
		.amdhsa_exception_fp_ieee_overflow 0
		.amdhsa_exception_fp_ieee_underflow 0
		.amdhsa_exception_fp_ieee_inexact 0
		.amdhsa_exception_int_div_zero 0
	.end_amdhsa_kernel
	.text
.Lfunc_end0:
	.size	bluestein_single_back_len154_dim1_dp_op_CI_CI, .Lfunc_end0-bluestein_single_back_len154_dim1_dp_op_CI_CI
                                        ; -- End function
	.section	.AMDGPU.csdata,"",@progbits
; Kernel info:
; codeLenInByte = 12200
; NumSgprs: 46
; NumVgprs: 250
; ScratchSize: 0
; MemoryBound: 0
; FloatMode: 240
; IeeeMode: 1
; LDSByteSize: 12320 bytes/workgroup (compile time only)
; SGPRBlocks: 5
; VGPRBlocks: 62
; NumSGPRsForWavesPerEU: 46
; NumVGPRsForWavesPerEU: 250
; Occupancy: 1
; WaveLimiterHint : 1
; COMPUTE_PGM_RSRC2:SCRATCH_EN: 0
; COMPUTE_PGM_RSRC2:USER_SGPR: 6
; COMPUTE_PGM_RSRC2:TRAP_HANDLER: 0
; COMPUTE_PGM_RSRC2:TGID_X_EN: 1
; COMPUTE_PGM_RSRC2:TGID_Y_EN: 0
; COMPUTE_PGM_RSRC2:TGID_Z_EN: 0
; COMPUTE_PGM_RSRC2:TIDIG_COMP_CNT: 0
	.type	__hip_cuid_fccc977ad77eeb84,@object ; @__hip_cuid_fccc977ad77eeb84
	.section	.bss,"aw",@nobits
	.globl	__hip_cuid_fccc977ad77eeb84
__hip_cuid_fccc977ad77eeb84:
	.byte	0                               ; 0x0
	.size	__hip_cuid_fccc977ad77eeb84, 1

	.ident	"AMD clang version 19.0.0git (https://github.com/RadeonOpenCompute/llvm-project roc-6.4.0 25133 c7fe45cf4b819c5991fe208aaa96edf142730f1d)"
	.section	".note.GNU-stack","",@progbits
	.addrsig
	.addrsig_sym __hip_cuid_fccc977ad77eeb84
	.amdgpu_metadata
---
amdhsa.kernels:
  - .args:
      - .actual_access:  read_only
        .address_space:  global
        .offset:         0
        .size:           8
        .value_kind:     global_buffer
      - .actual_access:  read_only
        .address_space:  global
        .offset:         8
        .size:           8
        .value_kind:     global_buffer
      - .actual_access:  read_only
        .address_space:  global
        .offset:         16
        .size:           8
        .value_kind:     global_buffer
      - .actual_access:  read_only
        .address_space:  global
        .offset:         24
        .size:           8
        .value_kind:     global_buffer
      - .actual_access:  read_only
        .address_space:  global
        .offset:         32
        .size:           8
        .value_kind:     global_buffer
      - .offset:         40
        .size:           8
        .value_kind:     by_value
      - .address_space:  global
        .offset:         48
        .size:           8
        .value_kind:     global_buffer
      - .address_space:  global
        .offset:         56
        .size:           8
        .value_kind:     global_buffer
      - .address_space:  global
        .offset:         64
        .size:           8
        .value_kind:     global_buffer
      - .address_space:  global
        .offset:         72
        .size:           8
        .value_kind:     global_buffer
      - .offset:         80
        .size:           4
        .value_kind:     by_value
      - .address_space:  global
        .offset:         88
        .size:           8
        .value_kind:     global_buffer
      - .address_space:  global
        .offset:         96
        .size:           8
        .value_kind:     global_buffer
    .group_segment_fixed_size: 12320
    .kernarg_segment_align: 8
    .kernarg_segment_size: 104
    .language:       OpenCL C
    .language_version:
      - 2
      - 0
    .max_flat_workgroup_size: 110
    .name:           bluestein_single_back_len154_dim1_dp_op_CI_CI
    .private_segment_fixed_size: 0
    .sgpr_count:     46
    .sgpr_spill_count: 0
    .symbol:         bluestein_single_back_len154_dim1_dp_op_CI_CI.kd
    .uniform_work_group_size: 1
    .uses_dynamic_stack: false
    .vgpr_count:     250
    .vgpr_spill_count: 0
    .wavefront_size: 64
amdhsa.target:   amdgcn-amd-amdhsa--gfx906
amdhsa.version:
  - 1
  - 2
...

	.end_amdgpu_metadata
